;; amdgpu-corpus repo=ROCm/rocFFT kind=compiled arch=gfx1201 opt=O3
	.text
	.amdgcn_target "amdgcn-amd-amdhsa--gfx1201"
	.amdhsa_code_object_version 6
	.protected	fft_rtc_fwd_len81_factors_9_3_3_wgs_189_tpt_9_dim3_dp_op_CI_CI_sbrr_dirReg ; -- Begin function fft_rtc_fwd_len81_factors_9_3_3_wgs_189_tpt_9_dim3_dp_op_CI_CI_sbrr_dirReg
	.globl	fft_rtc_fwd_len81_factors_9_3_3_wgs_189_tpt_9_dim3_dp_op_CI_CI_sbrr_dirReg
	.p2align	8
	.type	fft_rtc_fwd_len81_factors_9_3_3_wgs_189_tpt_9_dim3_dp_op_CI_CI_sbrr_dirReg,@function
fft_rtc_fwd_len81_factors_9_3_3_wgs_189_tpt_9_dim3_dp_op_CI_CI_sbrr_dirReg: ; @fft_rtc_fwd_len81_factors_9_3_3_wgs_189_tpt_9_dim3_dp_op_CI_CI_sbrr_dirReg
; %bb.0:
	s_load_b64 s[4:5], s[0:1], 0x8
	v_mul_u32_u24_e32 v1, 0x1c72, v0
	s_mov_b32 s6, exec_lo
	v_mov_b32_e32 v36, 0
	v_mov_b32_e32 v37, 0
	s_delay_alu instid0(VALU_DEP_3) | instskip(NEXT) | instid1(VALU_DEP_1)
	v_lshrrev_b32_e32 v1, 16, v1
	v_mad_co_u64_u32 v[38:39], null, ttmp9, 21, v[1:2]
	v_mov_b32_e32 v39, 0
	s_delay_alu instid0(VALU_DEP_4) | instskip(SKIP_3) | instid1(VALU_DEP_3)
	v_dual_mov_b32 v1, v36 :: v_dual_mov_b32 v2, v37
	s_wait_kmcnt 0x0
	s_load_b64 s[2:3], s[4:5], 0x8
	s_wait_kmcnt 0x0
	v_cmpx_le_u64_e64 s[2:3], v[38:39]
	s_cbranch_execz .LBB0_2
; %bb.1:
	v_cvt_f32_u32_e32 v1, s2
	s_sub_co_i32 s7, 0, s2
	s_delay_alu instid0(VALU_DEP_1) | instskip(NEXT) | instid1(TRANS32_DEP_1)
	v_rcp_iflag_f32_e32 v1, v1
	v_mul_f32_e32 v1, 0x4f7ffffe, v1
	s_delay_alu instid0(VALU_DEP_1) | instskip(NEXT) | instid1(VALU_DEP_1)
	v_cvt_u32_f32_e32 v1, v1
	v_mul_lo_u32 v2, s7, v1
	s_delay_alu instid0(VALU_DEP_1) | instskip(NEXT) | instid1(VALU_DEP_1)
	v_mul_hi_u32 v2, v1, v2
	v_add_nc_u32_e32 v1, v1, v2
	s_delay_alu instid0(VALU_DEP_1) | instskip(NEXT) | instid1(VALU_DEP_1)
	v_mul_hi_u32 v1, v38, v1
	v_mul_lo_u32 v2, v1, s2
	v_add_nc_u32_e32 v3, 1, v1
	s_delay_alu instid0(VALU_DEP_2) | instskip(NEXT) | instid1(VALU_DEP_1)
	v_sub_nc_u32_e32 v2, v38, v2
	v_subrev_nc_u32_e32 v4, s2, v2
	v_cmp_le_u32_e32 vcc_lo, s2, v2
	s_delay_alu instid0(VALU_DEP_2) | instskip(NEXT) | instid1(VALU_DEP_1)
	v_dual_cndmask_b32 v2, v2, v4 :: v_dual_cndmask_b32 v1, v1, v3
	v_cmp_le_u32_e32 vcc_lo, s2, v2
	s_delay_alu instid0(VALU_DEP_2) | instskip(SKIP_1) | instid1(VALU_DEP_1)
	v_dual_mov_b32 v2, v39 :: v_dual_add_nc_u32 v3, 1, v1
	s_wait_alu 0xfffd
	v_cndmask_b32_e32 v1, v1, v3, vcc_lo
.LBB0_2:
	s_or_b32 exec_lo, exec_lo, s6
	s_load_b64 s[4:5], s[4:5], 0x10
	s_mov_b32 s6, exec_lo
	s_wait_kmcnt 0x0
	v_cmpx_le_u64_e64 s[4:5], v[1:2]
	s_cbranch_execz .LBB0_4
; %bb.3:
	v_cvt_f32_u32_e32 v3, s4
	s_sub_co_i32 s7, 0, s4
	v_mov_b32_e32 v37, 0
	s_delay_alu instid0(VALU_DEP_2) | instskip(NEXT) | instid1(TRANS32_DEP_1)
	v_rcp_iflag_f32_e32 v3, v3
	v_mul_f32_e32 v3, 0x4f7ffffe, v3
	s_delay_alu instid0(VALU_DEP_1) | instskip(SKIP_1) | instid1(VALU_DEP_1)
	v_cvt_u32_f32_e32 v3, v3
	s_wait_alu 0xfffe
	v_mul_lo_u32 v4, s7, v3
	s_delay_alu instid0(VALU_DEP_1) | instskip(NEXT) | instid1(VALU_DEP_1)
	v_mul_hi_u32 v4, v3, v4
	v_add_nc_u32_e32 v3, v3, v4
	s_delay_alu instid0(VALU_DEP_1) | instskip(NEXT) | instid1(VALU_DEP_1)
	v_mul_hi_u32 v3, v1, v3
	v_mul_lo_u32 v4, v3, s4
	v_add_nc_u32_e32 v5, 1, v3
	s_delay_alu instid0(VALU_DEP_2) | instskip(NEXT) | instid1(VALU_DEP_1)
	v_sub_nc_u32_e32 v4, v1, v4
	v_subrev_nc_u32_e32 v6, s4, v4
	v_cmp_le_u32_e32 vcc_lo, s4, v4
	s_wait_alu 0xfffd
	s_delay_alu instid0(VALU_DEP_2) | instskip(NEXT) | instid1(VALU_DEP_1)
	v_dual_cndmask_b32 v4, v4, v6 :: v_dual_cndmask_b32 v3, v3, v5
	v_cmp_le_u32_e32 vcc_lo, s4, v4
	s_delay_alu instid0(VALU_DEP_2) | instskip(SKIP_1) | instid1(VALU_DEP_1)
	v_add_nc_u32_e32 v5, 1, v3
	s_wait_alu 0xfffd
	v_cndmask_b32_e32 v36, v3, v5, vcc_lo
.LBB0_4:
	s_wait_alu 0xfffe
	s_or_b32 exec_lo, exec_lo, s6
	v_mad_co_u64_u32 v[3:4], null, v1, s2, 0
	s_delay_alu instid0(VALU_DEP_2) | instskip(SKIP_3) | instid1(VALU_DEP_1)
	v_mad_co_u64_u32 v[5:6], null, v36, s4, 0
	s_clause 0x1
	s_load_b128 s[12:15], s[0:1], 0x18
	s_load_b64 s[16:17], s[0:1], 0x0
                                        ; implicit-def: $vgpr43
                                        ; implicit-def: $vgpr44
	v_mad_co_u64_u32 v[7:8], null, v1, s3, v[4:5]
	s_delay_alu instid0(VALU_DEP_3) | instskip(NEXT) | instid1(VALU_DEP_2)
	v_sub_co_u32 v39, s3, v38, v3
	v_mad_co_u64_u32 v[8:9], null, v36, s5, v[6:7]
	v_mov_b32_e32 v4, v7
	s_wait_kmcnt 0x0
	v_cmp_gt_u64_e32 vcc_lo, s[14:15], v[36:37]
	s_wait_alu 0xf1ff
	s_delay_alu instid0(VALU_DEP_2) | instskip(NEXT) | instid1(VALU_DEP_4)
	v_sub_co_ci_u32_e64 v40, s3, 0, v4, s3
	v_mov_b32_e32 v6, v8
	v_sub_co_u32 v41, s3, v1, v5
	v_and_b32_e32 v1, 0xffff, v0
	v_cmp_le_u64_e64 s2, s[14:15], v[36:37]
	s_wait_alu 0xf1ff
	v_sub_co_ci_u32_e64 v42, s3, v2, v6, s3
                                        ; implicit-def: $vgpr37
	s_delay_alu instid0(VALU_DEP_2)
	s_and_saveexec_b32 s3, s2
	s_wait_alu 0xfffe
	s_xor_b32 s2, exec_lo, s3
; %bb.5:
	v_mul_u32_u24_e32 v1, 0x1c72, v1
	s_delay_alu instid0(VALU_DEP_1) | instskip(NEXT) | instid1(VALU_DEP_1)
	v_lshrrev_b32_e32 v1, 16, v1
	v_mul_lo_u16 v1, v1, 9
	s_delay_alu instid0(VALU_DEP_1) | instskip(NEXT) | instid1(VALU_DEP_1)
	v_sub_nc_u16 v0, v0, v1
                                        ; implicit-def: $vgpr1
	v_and_b32_e32 v37, 0xffff, v0
                                        ; implicit-def: $vgpr0
	s_delay_alu instid0(VALU_DEP_1)
	v_add_nc_u32_e32 v43, 9, v37
	v_add_nc_u32_e32 v44, 18, v37
; %bb.6:
	s_wait_alu 0xfffe
	s_or_saveexec_b32 s14, s2
                                        ; implicit-def: $vgpr34_vgpr35
                                        ; implicit-def: $vgpr30_vgpr31
                                        ; implicit-def: $vgpr18_vgpr19
                                        ; implicit-def: $vgpr6_vgpr7
                                        ; implicit-def: $vgpr10_vgpr11
                                        ; implicit-def: $vgpr14_vgpr15
                                        ; implicit-def: $vgpr22_vgpr23
                                        ; implicit-def: $vgpr26_vgpr27
                                        ; implicit-def: $vgpr2_vgpr3
	s_wait_alu 0xfffe
	s_xor_b32 exec_lo, exec_lo, s14
	s_cbranch_execz .LBB0_8
; %bb.7:
	s_load_b64 s[2:3], s[0:1], 0x10
	v_mul_u32_u24_e32 v1, 0x1c72, v1
	s_delay_alu instid0(VALU_DEP_1) | instskip(NEXT) | instid1(VALU_DEP_1)
	v_lshrrev_b32_e32 v1, 16, v1
	v_mul_lo_u16 v1, v1, 9
	s_delay_alu instid0(VALU_DEP_1) | instskip(SKIP_2) | instid1(VALU_DEP_1)
	v_sub_nc_u16 v0, v0, v1
	s_wait_kmcnt 0x0
	s_load_b256 s[4:11], s[2:3], 0x0
	v_and_b32_e32 v37, 0xffff, v0
	s_load_b64 s[2:3], s[0:1], 0x50
	s_delay_alu instid0(VALU_DEP_1)
	v_add_nc_u32_e32 v23, 36, v37
	s_wait_kmcnt 0x0
	v_mul_lo_u32 v14, s9, v41
	v_mul_lo_u32 v18, s8, v42
	v_mad_co_u64_u32 v[0:1], null, s8, v41, 0
	v_mad_co_u64_u32 v[16:17], null, s4, v23, 0
	;; [unrolled: 1-line block ×3, first 2 shown]
	v_mul_lo_u32 v19, s7, v39
	v_mul_lo_u32 v20, s6, v40
	v_add3_u32 v1, v1, v18, v14
	v_mad_co_u64_u32 v[2:3], null, s6, v39, 0
	v_mov_b32_e32 v14, v17
	v_mad_co_u64_u32 v[6:7], null, s4, v37, 0
	v_add_nc_u32_e32 v43, 9, v37
	v_add_nc_u32_e32 v15, 27, v37
	v_lshlrev_b64_e32 v[0:1], 4, v[0:1]
	v_add3_u32 v3, v3, v20, v19
	v_add_nc_u32_e32 v31, 63, v37
	v_mad_co_u64_u32 v[8:9], null, s4, v43, 0
	v_mad_co_u64_u32 v[17:18], null, s11, v36, v[5:6]
	v_add_nc_u32_e32 v44, 18, v37
	v_mad_co_u64_u32 v[12:13], null, s4, v15, 0
	v_lshlrev_b64_e32 v[2:3], 4, v[2:3]
	v_mad_co_u64_u32 v[18:19], null, s5, v37, v[7:8]
	v_mov_b32_e32 v5, v17
	v_mad_co_u64_u32 v[10:11], null, s4, v44, 0
	v_add_nc_u32_e32 v28, 45, v37
	v_add_nc_u32_e32 v34, 0x48, v37
	s_delay_alu instid0(VALU_DEP_4)
	v_lshlrev_b64_e32 v[4:5], 4, v[4:5]
	v_mov_b32_e32 v7, v18
	v_mad_co_u64_u32 v[19:20], null, s5, v43, v[9:10]
	v_mad_co_u64_u32 v[20:21], null, s5, v44, v[11:12]
	;; [unrolled: 1-line block ×4, first 2 shown]
	s_delay_alu instid0(VALU_DEP_4) | instskip(SKIP_3) | instid1(VALU_DEP_3)
	v_dual_mov_b32 v9, v19 :: v_dual_add_nc_u32 v30, 54, v37
	v_add_co_u32 v15, s2, s2, v4
	s_wait_alu 0xf1ff
	v_add_co_ci_u32_e64 v17, s2, s3, v5, s2
	v_lshlrev_b64_e32 v[4:5], 4, v[8:9]
	s_delay_alu instid0(VALU_DEP_3) | instskip(SKIP_1) | instid1(VALU_DEP_3)
	v_add_co_u32 v8, s2, v15, v0
	s_wait_alu 0xf1ff
	v_add_co_ci_u32_e64 v9, s2, v17, v1, s2
	v_lshlrev_b64_e32 v[6:7], 4, v[6:7]
	s_delay_alu instid0(VALU_DEP_3) | instskip(SKIP_3) | instid1(VALU_DEP_3)
	v_add_co_u32 v32, s2, v8, v2
	v_mov_b32_e32 v11, v20
	s_wait_alu 0xf1ff
	v_add_co_ci_u32_e64 v33, s2, v9, v3, s2
	v_add_co_u32 v2, s2, v32, v6
	s_delay_alu instid0(VALU_DEP_3)
	v_lshlrev_b64_e32 v[0:1], 4, v[10:11]
	v_mov_b32_e32 v13, v21
	s_wait_alu 0xf1ff
	v_add_co_ci_u32_e64 v3, s2, v33, v7, s2
	v_add_co_u32 v4, s2, v32, v4
	s_wait_alu 0xf1ff
	v_add_co_ci_u32_e64 v5, s2, v33, v5, s2
	v_lshlrev_b64_e32 v[8:9], 4, v[12:13]
	v_add_co_u32 v6, s2, v32, v0
	s_wait_alu 0xf1ff
	v_add_co_ci_u32_e64 v7, s2, v33, v1, s2
	s_clause 0x1
	global_load_b128 v[0:3], v[2:3], off
	global_load_b128 v[24:27], v[4:5], off
	v_mad_co_u64_u32 v[4:5], null, s4, v28, 0
	v_mad_co_u64_u32 v[10:11], null, s4, v30, 0
	;; [unrolled: 1-line block ×3, first 2 shown]
	v_add_co_u32 v8, s2, v32, v8
	v_mov_b32_e32 v17, v14
	s_wait_alu 0xf1ff
	v_add_co_ci_u32_e64 v9, s2, v33, v9, s2
	v_mad_co_u64_u32 v[28:29], null, s5, v28, v[5:6]
	v_mad_co_u64_u32 v[11:12], null, s5, v30, v[11:12]
	s_clause 0x1
	global_load_b128 v[20:23], v[6:7], off
	global_load_b128 v[12:15], v[8:9], off
	v_lshlrev_b64_e32 v[7:8], 4, v[16:17]
	v_mad_co_u64_u32 v[29:30], null, s4, v34, 0
	v_dual_mov_b32 v6, v19 :: v_dual_mov_b32 v5, v28
	v_lshlrev_b64_e32 v[9:10], 4, v[10:11]
	s_delay_alu instid0(VALU_DEP_2) | instskip(NEXT) | instid1(VALU_DEP_4)
	v_mad_co_u64_u32 v[16:17], null, s5, v31, v[6:7]
	v_mov_b32_e32 v6, v30
	v_add_co_u32 v7, s2, v32, v7
	v_lshlrev_b64_e32 v[4:5], 4, v[4:5]
	s_wait_alu 0xf1ff
	v_add_co_ci_u32_e64 v8, s2, v33, v8, s2
	s_delay_alu instid0(VALU_DEP_3) | instskip(SKIP_1) | instid1(VALU_DEP_4)
	v_mad_co_u64_u32 v[30:31], null, s5, v34, v[6:7]
	v_mov_b32_e32 v19, v16
	v_add_co_u32 v4, s2, v32, v4
	s_wait_alu 0xf1ff
	v_add_co_ci_u32_e64 v5, s2, v33, v5, s2
	s_delay_alu instid0(VALU_DEP_3) | instskip(SKIP_4) | instid1(VALU_DEP_4)
	v_lshlrev_b64_e32 v[16:17], 4, v[18:19]
	v_add_co_u32 v18, s2, v32, v9
	s_wait_alu 0xf1ff
	v_add_co_ci_u32_e64 v19, s2, v33, v10, s2
	v_lshlrev_b64_e32 v[9:10], 4, v[29:30]
	v_add_co_u32 v28, s2, v32, v16
	s_wait_alu 0xf1ff
	v_add_co_ci_u32_e64 v29, s2, v33, v17, s2
	s_delay_alu instid0(VALU_DEP_3)
	v_add_co_u32 v32, s2, v32, v9
	s_wait_alu 0xf1ff
	v_add_co_ci_u32_e64 v33, s2, v33, v10, s2
	s_clause 0x4
	global_load_b128 v[8:11], v[7:8], off
	global_load_b128 v[4:7], v[4:5], off
	;; [unrolled: 1-line block ×5, first 2 shown]
.LBB0_8:
	s_or_b32 exec_lo, exec_lo, s14
	s_wait_loadcnt 0x0
	v_add_f64_e64 v[45:46], v[24:25], -v[32:33]
	v_add_f64_e64 v[47:48], v[26:27], -v[34:35]
	v_add_f64_e32 v[24:25], v[32:33], v[24:25]
	v_add_f64_e32 v[26:27], v[34:35], v[26:27]
	v_add_f64_e64 v[34:35], v[8:9], -v[4:5]
	v_add_f64_e64 v[49:50], v[10:11], -v[6:7]
	v_add_f64_e32 v[51:52], v[28:29], v[20:21]
	v_add_f64_e32 v[53:54], v[30:31], v[22:23]
	;; [unrolled: 1-line block ×4, first 2 shown]
	s_mov_b32 s2, 0x8c811c17
	s_mov_b32 s6, 0xa2cf5039
	;; [unrolled: 1-line block ×6, first 2 shown]
	v_add_f64_e64 v[20:21], v[20:21], -v[28:29]
	v_add_f64_e64 v[22:23], v[22:23], -v[30:31]
	v_add_f64_e32 v[77:78], v[16:17], v[12:13]
	v_add_f64_e64 v[12:13], v[12:13], -v[16:17]
	v_add_f64_e32 v[79:80], v[18:19], v[14:15]
	v_add_f64_e64 v[14:15], v[14:15], -v[18:19]
	s_mov_b32 s15, 0xbfebb67a
	s_wait_alu 0xfffe
	v_mul_f64_e32 v[28:29], s[4:5], v[45:46]
	v_mul_f64_e32 v[30:31], s[4:5], v[47:48]
	v_fma_f64 v[57:58], v[24:25], s[6:7], v[0:1]
	v_fma_f64 v[59:60], v[26:27], s[6:7], v[2:3]
	v_mul_f64_e32 v[63:64], s[2:3], v[34:35]
	v_mul_f64_e32 v[65:66], s[2:3], v[49:50]
	v_fma_f64 v[67:68], v[51:52], s[6:7], v[0:1]
	v_fma_f64 v[69:70], v[53:54], s[6:7], v[2:3]
	s_mov_b32 s5, 0xbfe491b7
	v_fma_f64 v[61:62], v[32:33], s[6:7], v[0:1]
	v_fma_f64 v[71:72], v[55:56], s[6:7], v[2:3]
	s_wait_alu 0xfffe
	v_mul_f64_e32 v[73:74], s[4:5], v[49:50]
	v_mul_f64_e32 v[75:76], s[4:5], v[34:35]
	v_add_f64_e32 v[16:17], v[51:52], v[24:25]
	v_add_f64_e32 v[18:19], v[53:54], v[26:27]
	s_mov_b32 s6, 0x7e0b738b
	s_mov_b32 s7, 0x3fc63a1a
	v_add_f64_e32 v[81:82], v[34:35], v[45:46]
	v_add_f64_e32 v[83:84], v[49:50], v[47:48]
	;; [unrolled: 1-line block ×4, first 2 shown]
	v_fma_f64 v[28:29], v[20:21], s[2:3], v[28:29]
	v_fma_f64 v[30:31], v[22:23], s[2:3], v[30:31]
	s_wait_alu 0xfffe
	v_fma_f64 v[57:58], v[51:52], s[6:7], v[57:58]
	v_fma_f64 v[59:60], v[53:54], s[6:7], v[59:60]
	v_fma_f64 v[63:64], v[20:21], s[4:5], -v[63:64]
	v_fma_f64 v[65:66], v[22:23], s[4:5], -v[65:66]
	v_fma_f64 v[67:68], v[32:33], s[6:7], v[67:68]
	v_fma_f64 v[69:70], v[55:56], s[6:7], v[69:70]
	s_mov_b32 s4, 0x748a0bf8
	v_fma_f64 v[61:62], v[24:25], s[6:7], v[61:62]
	v_fma_f64 v[71:72], v[26:27], s[6:7], v[71:72]
	v_fma_f64 v[73:74], v[47:48], s[2:3], v[73:74]
	v_fma_f64 v[75:76], v[45:46], s[2:3], v[75:76]
	v_add_f64_e32 v[89:90], v[32:33], v[16:17]
	v_add_f64_e32 v[16:17], v[77:78], v[16:17]
	;; [unrolled: 1-line block ×4, first 2 shown]
	s_mov_b32 s3, 0x3febb67a
	s_mov_b32 s2, 0xe8584cab
	;; [unrolled: 1-line block ×3, first 2 shown]
	s_wait_alu 0xfffe
	s_mov_b32 s14, s2
	s_mov_b32 s5, 0x3fd5e3a8
	;; [unrolled: 1-line block ×3, first 2 shown]
	v_fma_f64 v[28:29], v[12:13], s[2:3], v[28:29]
	v_fma_f64 v[30:31], v[14:15], s[2:3], v[30:31]
	v_fma_f64 v[57:58], v[77:78], -0.5, v[57:58]
	v_fma_f64 v[59:60], v[79:80], -0.5, v[59:60]
	v_fma_f64 v[63:64], v[12:13], s[2:3], v[63:64]
	v_fma_f64 v[65:66], v[14:15], s[2:3], v[65:66]
	v_fma_f64 v[67:68], v[77:78], -0.5, v[67:68]
	v_fma_f64 v[69:70], v[79:80], -0.5, v[69:70]
	;; [unrolled: 1-line block ×4, first 2 shown]
	s_wait_alu 0xfffe
	v_fma_f64 v[14:15], v[14:15], s[14:15], v[73:74]
	v_fma_f64 v[12:13], v[12:13], s[14:15], v[75:76]
	v_add_f64_e64 v[73:74], v[81:82], -v[20:21]
	v_add_f64_e32 v[8:9], v[8:9], v[16:17]
	v_add_f64_e64 v[75:76], v[83:84], -v[22:23]
	v_add_f64_e32 v[10:11], v[10:11], v[18:19]
	v_fma_f64 v[77:78], v[89:90], -0.5, v[85:86]
	v_fma_f64 v[79:80], v[91:92], -0.5, v[87:88]
	v_fma_f64 v[81:82], v[34:35], s[4:5], v[28:29]
	v_fma_f64 v[28:29], v[49:50], s[4:5], v[30:31]
	;; [unrolled: 1-line block ×12, first 2 shown]
	v_mul_f64_e32 v[51:52], s[2:3], v[73:74]
	v_add_f64_e32 v[20:21], v[4:5], v[8:9]
	v_mul_f64_e32 v[53:54], s[2:3], v[75:76]
	v_add_f64_e32 v[22:23], v[6:7], v[10:11]
	v_fma_f64 v[4:5], v[75:76], s[2:3], v[77:78]
	v_fma_f64 v[6:7], v[73:74], s[14:15], v[79:80]
	s_load_b256 s[4:11], s[12:13], 0x0
	v_add_f64_e32 v[8:9], v[28:29], v[16:17]
	v_add_f64_e64 v[10:11], v[18:19], -v[81:82]
	v_add_f64_e32 v[12:13], v[32:33], v[24:25]
	v_add_f64_e64 v[14:15], v[26:27], -v[34:35]
	v_mul_hi_u32 v24, 0x86186187, v38
	v_add_f64_e32 v[16:17], v[47:48], v[30:31]
	v_add_f64_e64 v[18:19], v[45:46], -v[49:50]
	v_add_f64_e32 v[20:21], v[0:1], v[20:21]
	v_and_b32_e32 v1, 0xff, v44
	v_sub_nc_u32_e32 v25, v38, v24
	v_add_f64_e32 v[22:23], v[2:3], v[22:23]
	v_fma_f64 v[26:27], v[51:52], 2.0, v[6:7]
	s_delay_alu instid0(VALU_DEP_4) | instskip(NEXT) | instid1(VALU_DEP_4)
	v_mul_lo_u16 v1, v1, 57
	v_lshrrev_b32_e32 v25, 1, v25
	s_delay_alu instid0(VALU_DEP_2) | instskip(NEXT) | instid1(VALU_DEP_2)
	v_lshrrev_b16 v3, 9, v1
	v_dual_mov_b32 v1, 0 :: v_dual_add_nc_u32 v24, v25, v24
	s_delay_alu instid0(VALU_DEP_1) | instskip(SKIP_1) | instid1(VALU_DEP_2)
	v_lshrrev_b32_e32 v55, 4, v24
	v_fma_f64 v[24:25], v[53:54], -2.0, v[4:5]
	v_mul_lo_u32 v0, v55, 21
	v_fma_f64 v[28:29], v[28:29], -2.0, v[8:9]
	v_fma_f64 v[30:31], v[81:82], 2.0, v[10:11]
	v_fma_f64 v[32:33], v[32:33], -2.0, v[12:13]
	v_fma_f64 v[34:35], v[34:35], 2.0, v[14:15]
	v_sub_nc_u32_e32 v2, v38, v0
	v_lshlrev_b32_e32 v0, 1, v37
	v_mul_lo_u16 v38, v3, 9
	v_fma_f64 v[45:46], v[47:48], -2.0, v[16:17]
	v_fma_f64 v[47:48], v[49:50], 2.0, v[18:19]
	v_mul_u32_u24_e32 v2, 0x51, v2
	s_delay_alu instid0(VALU_DEP_1) | instskip(SKIP_2) | instid1(VALU_DEP_3)
	v_lshl_add_u32 v85, v2, 4, 0
	v_lshlrev_b64_e32 v[2:3], 4, v[0:1]
	v_sub_nc_u16 v0, v44, v38
	v_mad_u32_u24 v38, 0x90, v37, v85
	ds_store_b128 v38, v[20:23]
	ds_store_b128 v38, v[8:11] offset:16
	ds_store_b128 v38, v[16:19] offset:32
	;; [unrolled: 1-line block ×8, first 2 shown]
	v_add_co_u32 v2, s2, s16, v2
	s_wait_alu 0xf1ff
	v_add_co_ci_u32_e64 v3, s2, s17, v3, s2
	v_and_b32_e32 v0, 0xff, v0
	global_wb scope:SCOPE_SE
	s_wait_dscnt 0x0
	s_wait_kmcnt 0x0
	s_barrier_signal -1
	s_barrier_wait -1
	global_inv scope:SCOPE_SE
	s_clause 0x1
	global_load_b128 v[5:8], v[2:3], off
	global_load_b128 v[9:12], v[2:3], off offset:16
	v_lshlrev_b32_e32 v4, 5, v0
	s_clause 0x1
	global_load_b128 v[13:16], v4, s[16:17]
	global_load_b128 v[17:20], v4, s[16:17] offset:16
	v_lshlrev_b32_e32 v4, 7, v37
	s_mov_b32 s2, 0xe8584caa
	v_lshl_add_u32 v0, v0, 4, v85
	s_wait_alu 0xfffe
	s_mov_b32 s14, s2
	v_sub_nc_u32_e32 v4, v38, v4
	ds_load_b128 v[21:24], v4 offset:432
	ds_load_b128 v[25:28], v4 offset:864
	;; [unrolled: 1-line block ×6, first 2 shown]
	s_wait_loadcnt_dscnt 0x305
	v_mul_f64_e32 v[33:34], v[23:24], v[7:8]
	s_wait_loadcnt_dscnt 0x204
	v_mul_f64_e32 v[57:58], v[27:28], v[11:12]
	v_mul_f64_e32 v[59:60], v[21:22], v[7:8]
	;; [unrolled: 1-line block ×3, first 2 shown]
	s_wait_dscnt 0x3
	v_mul_f64_e32 v[63:64], v[31:32], v[7:8]
	s_wait_dscnt 0x2
	v_mul_f64_e32 v[65:66], v[47:48], v[11:12]
	v_mul_f64_e32 v[7:8], v[29:30], v[7:8]
	;; [unrolled: 1-line block ×3, first 2 shown]
	s_wait_loadcnt_dscnt 0x101
	v_mul_f64_e32 v[67:68], v[51:52], v[15:16]
	s_wait_loadcnt_dscnt 0x0
	v_mul_f64_e32 v[69:70], v[55:56], v[19:20]
	v_mul_f64_e32 v[15:16], v[49:50], v[15:16]
	;; [unrolled: 1-line block ×3, first 2 shown]
	v_fma_f64 v[21:22], v[21:22], v[5:6], -v[33:34]
	v_fma_f64 v[25:26], v[25:26], v[9:10], -v[57:58]
	v_fma_f64 v[23:24], v[23:24], v[5:6], v[59:60]
	v_fma_f64 v[27:28], v[27:28], v[9:10], v[61:62]
	v_fma_f64 v[29:30], v[29:30], v[5:6], -v[63:64]
	v_fma_f64 v[33:34], v[45:46], v[9:10], -v[65:66]
	v_fma_f64 v[31:32], v[31:32], v[5:6], v[7:8]
	v_fma_f64 v[45:46], v[47:48], v[9:10], v[11:12]
	;; [unrolled: 4-line block ×3, first 2 shown]
	v_lshl_add_u32 v6, v37, 4, v85
	v_lshl_add_u32 v5, v43, 4, v85
	;; [unrolled: 1-line block ×3, first 2 shown]
	ds_load_b128 v[8:11], v6
	ds_load_b128 v[12:15], v5
	;; [unrolled: 1-line block ×3, first 2 shown]
	global_wb scope:SCOPE_SE
	s_wait_dscnt 0x0
	s_barrier_signal -1
	s_barrier_wait -1
	global_inv scope:SCOPE_SE
	v_add_f64_e32 v[67:68], v[8:9], v[21:22]
	v_add_f64_e32 v[55:56], v[21:22], v[25:26]
	v_add_f64_e64 v[79:80], v[21:22], -v[25:26]
	v_add_f64_e32 v[57:58], v[23:24], v[27:28]
	v_add_f64_e64 v[69:70], v[23:24], -v[27:28]
	v_add_f64_e32 v[59:60], v[29:30], v[33:34]
	v_add_f64_e32 v[23:24], v[10:11], v[23:24]
	;; [unrolled: 1-line block ×7, first 2 shown]
	v_add_f64_e64 v[31:32], v[31:32], -v[45:46]
	v_add_f64_e64 v[81:82], v[29:30], -v[33:34]
	v_add_f64_e32 v[75:76], v[16:17], v[47:48]
	v_add_f64_e32 v[77:78], v[18:19], v[51:52]
	v_add_f64_e64 v[51:52], v[51:52], -v[53:54]
	v_add_f64_e64 v[83:84], v[47:48], -v[49:50]
	v_fma_f64 v[55:56], v[55:56], -0.5, v[8:9]
	v_add_f64_e32 v[8:9], v[67:68], v[25:26]
	v_fma_f64 v[57:58], v[57:58], -0.5, v[10:11]
	v_fma_f64 v[59:60], v[59:60], -0.5, v[12:13]
	v_add_f64_e32 v[10:11], v[23:24], v[27:28]
	v_fma_f64 v[61:62], v[61:62], -0.5, v[14:15]
	v_add_f64_e32 v[12:13], v[71:72], v[33:34]
	;; [unrolled: 2-line block ×4, first 2 shown]
	v_add_f64_e32 v[18:19], v[77:78], v[53:54]
	v_fma_f64 v[20:21], v[69:70], s[2:3], v[55:56]
	s_wait_alu 0xfffe
	v_fma_f64 v[24:25], v[69:70], s[14:15], v[55:56]
	v_fma_f64 v[22:23], v[79:80], s[14:15], v[57:58]
	;; [unrolled: 1-line block ×11, first 2 shown]
	ds_store_b128 v4, v[8:11]
	ds_store_b128 v4, v[20:23] offset:144
	ds_store_b128 v4, v[24:27] offset:288
	;; [unrolled: 1-line block ×8, first 2 shown]
	global_wb scope:SCOPE_SE
	s_wait_dscnt 0x0
	s_barrier_signal -1
	s_barrier_wait -1
	global_inv scope:SCOPE_SE
	s_and_saveexec_b32 s12, vcc_lo
	s_cbranch_execz .LBB0_10
; %bb.9:
	s_clause 0x1
	global_load_b128 v[8:11], v[2:3], off offset:288
	global_load_b128 v[12:15], v[2:3], off offset:304
	v_add_nc_u32_e32 v81, 9, v37
	v_mul_lo_u32 v70, s9, v41
	v_mul_lo_u32 v71, s8, v42
	v_mad_co_u64_u32 v[62:63], null, s8, v41, 0
	v_mad_co_u64_u32 v[64:65], null, s10, v36, 0
	;; [unrolled: 1-line block ×3, first 2 shown]
	v_mul_hi_u32 v75, 0x2f684bdb, v81
	v_mul_lo_u32 v72, s7, v39
	v_mul_lo_u32 v73, s6, v40
	v_add3_u32 v63, v63, v71, v70
	v_mul_hi_u32 v74, 0x2f684bdb, v37
	v_add_nc_u32_e32 v82, 18, v37
	v_mad_co_u64_u32 v[70:71], null, s11, v36, v[65:66]
	v_lshlrev_b32_e32 v0, 1, v44
	v_sub_nc_u32_e32 v65, v81, v75
	v_add3_u32 v67, v67, v73, v72
	v_mul_hi_u32 v76, 0x2f684bdb, v82
	v_sub_nc_u32_e32 v77, v37, v74
	s_load_b64 s[0:1], s[0:1], 0x58
	v_lshrrev_b32_e32 v73, 1, v65
	v_mov_b32_e32 v65, v70
	v_lshlrev_b64_e32 v[16:17], 4, v[0:1]
	v_lshlrev_b32_e32 v0, 1, v43
	v_lshrrev_b32_e32 v36, 1, v77
	v_sub_nc_u32_e32 v71, v82, v76
	v_add_nc_u32_e32 v70, v73, v75
	v_lshlrev_b64_e32 v[62:63], 4, v[62:63]
	v_lshlrev_b64_e32 v[0:1], 4, v[0:1]
	v_add_co_u32 v16, vcc_lo, s16, v16
	s_wait_alu 0xfffd
	v_add_co_ci_u32_e32 v17, vcc_lo, s17, v17, vcc_lo
	v_add_nc_u32_e32 v36, v36, v74
	s_delay_alu instid0(VALU_DEP_4)
	v_add_co_u32 v24, vcc_lo, s16, v0
	s_wait_alu 0xfffd
	v_add_co_ci_u32_e32 v25, vcc_lo, s17, v1, vcc_lo
	s_clause 0x3
	global_load_b128 v[0:3], v[16:17], off offset:288
	global_load_b128 v[16:19], v[16:17], off offset:304
	;; [unrolled: 1-line block ×4, first 2 shown]
	ds_load_b128 v[28:31], v4 offset:432
	ds_load_b128 v[32:35], v7
	ds_load_b128 v[38:41], v6
	ds_load_b128 v[42:45], v4 offset:1008
	ds_load_b128 v[46:49], v4 offset:864
	;; [unrolled: 1-line block ×5, first 2 shown]
	ds_load_b128 v[4:7], v5
	v_lshrrev_b32_e32 v74, 1, v71
	v_lshrrev_b32_e32 v36, 4, v36
	s_delay_alu instid0(VALU_DEP_2) | instskip(NEXT) | instid1(VALU_DEP_2)
	v_add_nc_u32_e32 v83, v74, v76
	v_mul_lo_u32 v36, v36, 27
	s_wait_loadcnt_dscnt 0x508
	v_mul_f64_e32 v[68:69], v[10:11], v[30:31]
	v_mul_f64_e32 v[30:31], v[8:9], v[30:31]
	s_wait_loadcnt_dscnt 0x404
	v_mul_f64_e32 v[71:72], v[14:15], v[48:49]
	v_mul_f64_e32 v[48:49], v[12:13], v[48:49]
	s_delay_alu instid0(VALU_DEP_4) | instskip(NEXT) | instid1(VALU_DEP_4)
	v_fma_f64 v[8:9], v[8:9], v[28:29], -v[68:69]
	v_fma_f64 v[10:11], v[28:29], v[10:11], v[30:31]
	v_sub_nc_u32_e32 v68, v37, v36
	s_wait_loadcnt_dscnt 0x303
	v_mul_f64_e32 v[73:74], v[0:1], v[52:53]
	s_wait_loadcnt_dscnt 0x201
	v_mul_f64_e32 v[30:31], v[18:19], v[60:61]
	v_mul_f64_e32 v[75:76], v[16:17], v[60:61]
	s_wait_loadcnt 0x1
	v_mul_f64_e32 v[77:78], v[22:23], v[56:57]
	s_wait_loadcnt 0x0
	v_mul_f64_e32 v[79:80], v[26:27], v[44:45]
	v_mul_f64_e32 v[56:57], v[20:21], v[56:57]
	;; [unrolled: 1-line block ×4, first 2 shown]
	v_mad_co_u64_u32 v[36:37], null, s4, v68, 0
	v_lshlrev_b64_e32 v[52:53], 4, v[64:65]
	v_lshrrev_b32_e32 v64, 4, v70
	v_lshrrev_b32_e32 v65, 4, v83
	v_fma_f64 v[12:13], v[12:13], v[46:47], -v[71:72]
	v_fma_f64 v[14:15], v[46:47], v[14:15], v[48:49]
	v_lshlrev_b64_e32 v[60:61], 4, v[66:67]
	v_mul_lo_u32 v66, v64, 27
	v_mul_lo_u32 v67, v65, 27
	s_wait_kmcnt 0x0
	v_add_co_u32 v52, vcc_lo, s0, v52
	s_wait_alu 0xfffd
	v_add_co_ci_u32_e32 v53, vcc_lo, s1, v53, vcc_lo
	v_add_nc_u32_e32 v69, 27, v68
	s_delay_alu instid0(VALU_DEP_3) | instskip(SKIP_1) | instid1(VALU_DEP_3)
	v_add_co_u32 v62, vcc_lo, v52, v62
	s_wait_alu 0xfffd
	v_add_co_ci_u32_e32 v63, vcc_lo, v53, v63, vcc_lo
	s_delay_alu instid0(VALU_DEP_2) | instskip(SKIP_1) | instid1(VALU_DEP_2)
	v_add_co_u32 v87, vcc_lo, v62, v60
	s_wait_alu 0xfffd
	v_add_co_ci_u32_e32 v88, vcc_lo, v63, v61, vcc_lo
	v_fma_f64 v[2:3], v[50:51], v[2:3], v[73:74]
	v_fma_f64 v[16:17], v[16:17], v[58:59], -v[30:31]
	v_mov_b32_e32 v30, v37
	v_fma_f64 v[18:19], v[58:59], v[18:19], v[75:76]
	v_fma_f64 v[20:21], v[20:21], v[54:55], -v[77:78]
	v_fma_f64 v[24:25], v[24:25], v[42:43], -v[79:80]
	v_fma_f64 v[22:23], v[54:55], v[22:23], v[56:57]
	v_mad_co_u64_u32 v[30:31], null, s5, v68, v[30:31]
	v_fma_f64 v[26:27], v[42:43], v[26:27], v[44:45]
	v_fma_f64 v[0:1], v[0:1], v[50:51], -v[28:29]
	v_sub_nc_u32_e32 v52, v81, v66
	v_mad_co_u64_u32 v[42:43], null, s4, v69, 0
	v_add_f64_e32 v[56:57], v[8:9], v[12:13]
	v_mov_b32_e32 v37, v30
	v_sub_nc_u32_e32 v53, v82, v67
	v_add_f64_e32 v[75:76], v[10:11], v[40:41]
	v_mov_b32_e32 v31, v43
	s_delay_alu instid0(VALU_DEP_3) | instskip(SKIP_2) | instid1(VALU_DEP_4)
	v_mad_co_u64_u32 v[44:45], null, 0x51, v64, v[52:53]
	v_mad_co_u64_u32 v[45:46], null, 0x51, v65, v[53:54]
	v_add_f64_e32 v[54:55], v[10:11], v[14:15]
	v_mad_co_u64_u32 v[50:51], null, s5, v69, v[31:32]
	v_lshlrev_b64_e32 v[36:37], 4, v[36:37]
	v_add_nc_u32_e32 v73, 54, v44
	v_mad_co_u64_u32 v[46:47], null, s4, v44, 0
	v_mad_co_u64_u32 v[48:49], null, s4, v45, 0
	s_delay_alu instid0(VALU_DEP_3) | instskip(SKIP_4) | instid1(VALU_DEP_4)
	v_mad_co_u64_u32 v[58:59], null, s4, v73, 0
	v_add_nc_u32_e32 v70, 54, v68
	v_add_nc_u32_e32 v89, 27, v45
	v_dual_mov_b32 v43, v50 :: v_dual_add_nc_u32 v90, 54, v45
	v_add_f64_e32 v[77:78], v[2:3], v[34:35]
	v_mad_co_u64_u32 v[28:29], null, s4, v70, 0
	v_add_f64_e32 v[64:65], v[20:21], v[24:25]
	v_mad_co_u64_u32 v[60:61], null, s4, v89, 0
	v_add_nc_u32_e32 v72, 27, v44
	v_add_f64_e32 v[62:63], v[22:23], v[26:27]
	v_add_f64_e32 v[68:69], v[0:1], v[16:17]
	v_mad_co_u64_u32 v[51:52], null, s5, v70, v[29:30]
	v_add_f64_e32 v[30:31], v[2:3], v[18:19]
	v_add_f64_e32 v[79:80], v[0:1], v[32:33]
	s_wait_dscnt 0x0
	v_add_f64_e32 v[81:82], v[22:23], v[6:7]
	v_add_f64_e64 v[85:86], v[22:23], -v[26:27]
	v_add_f64_e64 v[83:84], v[0:1], -v[16:17]
	v_mad_co_u64_u32 v[66:67], null, s4, v90, 0
	v_mov_b32_e32 v29, v51
	v_mad_co_u64_u32 v[50:51], null, s5, v44, v[47:48]
	v_mov_b32_e32 v47, v59
	v_lshlrev_b64_e32 v[42:43], 4, v[42:43]
	v_fma_f64 v[40:41], v[54:55], -0.5, v[40:41]
	v_add_f64_e32 v[54:55], v[20:21], v[4:5]
	v_add_f64_e64 v[20:21], v[20:21], -v[24:25]
	v_lshlrev_b64_e32 v[28:29], 4, v[28:29]
	v_mad_co_u64_u32 v[70:71], null, s5, v45, v[49:50]
	v_mov_b32_e32 v45, v61
	v_mad_co_u64_u32 v[52:53], null, s4, v72, 0
	v_mov_b32_e32 v49, v67
	v_add_co_u32 v36, vcc_lo, v87, v36
	s_delay_alu instid0(VALU_DEP_4)
	v_mad_co_u64_u32 v[0:1], null, s5, v89, v[45:46]
	s_wait_alu 0xfffd
	v_add_co_ci_u32_e32 v37, vcc_lo, v88, v37, vcc_lo
	v_mov_b32_e32 v44, v53
	v_add_co_u32 v42, vcc_lo, v87, v42
	s_wait_alu 0xfffd
	v_add_co_ci_u32_e32 v43, vcc_lo, v88, v43, vcc_lo
	s_delay_alu instid0(VALU_DEP_3)
	v_mad_co_u64_u32 v[71:72], null, s5, v72, v[44:45]
	v_mad_co_u64_u32 v[72:73], null, s5, v73, v[47:48]
	v_add_f64_e64 v[73:74], v[8:9], -v[12:13]
	v_add_f64_e32 v[8:9], v[8:9], v[38:39]
	v_fma_f64 v[38:39], v[56:57], -0.5, v[38:39]
	v_add_f64_e64 v[56:57], v[10:11], -v[14:15]
	v_fma_f64 v[34:35], v[30:31], -0.5, v[34:35]
	v_fma_f64 v[30:31], v[62:63], -0.5, v[6:7]
	;; [unrolled: 1-line block ×3, first 2 shown]
	v_add_f64_e64 v[44:45], v[2:3], -v[18:19]
	v_fma_f64 v[64:65], v[68:69], -0.5, v[32:33]
	v_mad_co_u64_u32 v[1:2], null, s5, v90, v[49:50]
	v_mov_b32_e32 v61, v0
	v_add_f64_e32 v[2:3], v[14:15], v[75:76]
	v_add_f64_e32 v[6:7], v[18:19], v[77:78]
	;; [unrolled: 1-line block ×3, first 2 shown]
	v_mov_b32_e32 v47, v50
	v_add_co_u32 v50, vcc_lo, v87, v28
	v_mov_b32_e32 v67, v1
	v_add_f64_e32 v[10:11], v[26:27], v[81:82]
	s_wait_alu 0xfffd
	v_add_co_ci_u32_e32 v51, vcc_lo, v88, v29, vcc_lo
	v_mov_b32_e32 v49, v70
	v_lshlrev_b64_e32 v[46:47], 4, v[46:47]
	v_mov_b32_e32 v53, v71
	v_mov_b32_e32 v59, v72
	s_delay_alu instid0(VALU_DEP_3) | instskip(SKIP_1) | instid1(VALU_DEP_4)
	v_add_co_u32 v46, vcc_lo, v87, v46
	s_wait_alu 0xfffd
	v_add_co_ci_u32_e32 v47, vcc_lo, v88, v47, vcc_lo
	v_fma_f64 v[18:19], v[73:74], s[14:15], v[40:41]
	v_add_f64_e32 v[0:1], v[12:13], v[8:9]
	v_fma_f64 v[14:15], v[73:74], s[2:3], v[40:41]
	v_fma_f64 v[16:17], v[56:57], s[2:3], v[38:39]
	;; [unrolled: 1-line block ×3, first 2 shown]
	v_add_f64_e32 v[8:9], v[24:25], v[54:55]
	v_fma_f64 v[26:27], v[20:21], s[2:3], v[30:31]
	v_fma_f64 v[30:31], v[20:21], s[14:15], v[30:31]
	;; [unrolled: 1-line block ×8, first 2 shown]
	v_lshlrev_b64_e32 v[38:39], 4, v[48:49]
	v_lshlrev_b64_e32 v[40:41], 4, v[52:53]
	;; [unrolled: 1-line block ×5, first 2 shown]
	v_add_co_u32 v38, vcc_lo, v87, v38
	s_wait_alu 0xfffd
	v_add_co_ci_u32_e32 v39, vcc_lo, v88, v39, vcc_lo
	v_add_co_u32 v40, vcc_lo, v87, v40
	s_wait_alu 0xfffd
	v_add_co_ci_u32_e32 v41, vcc_lo, v88, v41, vcc_lo
	;; [unrolled: 3-line block ×5, first 2 shown]
	s_clause 0x8
	global_store_b128 v[36:37], v[0:3], off
	global_store_b128 v[42:43], v[16:19], off
	;; [unrolled: 1-line block ×9, first 2 shown]
.LBB0_10:
	s_nop 0
	s_sendmsg sendmsg(MSG_DEALLOC_VGPRS)
	s_endpgm
	.section	.rodata,"a",@progbits
	.p2align	6, 0x0
	.amdhsa_kernel fft_rtc_fwd_len81_factors_9_3_3_wgs_189_tpt_9_dim3_dp_op_CI_CI_sbrr_dirReg
		.amdhsa_group_segment_fixed_size 0
		.amdhsa_private_segment_fixed_size 0
		.amdhsa_kernarg_size 96
		.amdhsa_user_sgpr_count 2
		.amdhsa_user_sgpr_dispatch_ptr 0
		.amdhsa_user_sgpr_queue_ptr 0
		.amdhsa_user_sgpr_kernarg_segment_ptr 1
		.amdhsa_user_sgpr_dispatch_id 0
		.amdhsa_user_sgpr_private_segment_size 0
		.amdhsa_wavefront_size32 1
		.amdhsa_uses_dynamic_stack 0
		.amdhsa_enable_private_segment 0
		.amdhsa_system_sgpr_workgroup_id_x 1
		.amdhsa_system_sgpr_workgroup_id_y 0
		.amdhsa_system_sgpr_workgroup_id_z 0
		.amdhsa_system_sgpr_workgroup_info 0
		.amdhsa_system_vgpr_workitem_id 0
		.amdhsa_next_free_vgpr 93
		.amdhsa_next_free_sgpr 18
		.amdhsa_reserve_vcc 1
		.amdhsa_float_round_mode_32 0
		.amdhsa_float_round_mode_16_64 0
		.amdhsa_float_denorm_mode_32 3
		.amdhsa_float_denorm_mode_16_64 3
		.amdhsa_fp16_overflow 0
		.amdhsa_workgroup_processor_mode 1
		.amdhsa_memory_ordered 1
		.amdhsa_forward_progress 0
		.amdhsa_round_robin_scheduling 0
		.amdhsa_exception_fp_ieee_invalid_op 0
		.amdhsa_exception_fp_denorm_src 0
		.amdhsa_exception_fp_ieee_div_zero 0
		.amdhsa_exception_fp_ieee_overflow 0
		.amdhsa_exception_fp_ieee_underflow 0
		.amdhsa_exception_fp_ieee_inexact 0
		.amdhsa_exception_int_div_zero 0
	.end_amdhsa_kernel
	.text
.Lfunc_end0:
	.size	fft_rtc_fwd_len81_factors_9_3_3_wgs_189_tpt_9_dim3_dp_op_CI_CI_sbrr_dirReg, .Lfunc_end0-fft_rtc_fwd_len81_factors_9_3_3_wgs_189_tpt_9_dim3_dp_op_CI_CI_sbrr_dirReg
                                        ; -- End function
	.section	.AMDGPU.csdata,"",@progbits
; Kernel info:
; codeLenInByte = 4868
; NumSgprs: 20
; NumVgprs: 93
; ScratchSize: 0
; MemoryBound: 1
; FloatMode: 240
; IeeeMode: 1
; LDSByteSize: 0 bytes/workgroup (compile time only)
; SGPRBlocks: 2
; VGPRBlocks: 11
; NumSGPRsForWavesPerEU: 20
; NumVGPRsForWavesPerEU: 93
; Occupancy: 15
; WaveLimiterHint : 1
; COMPUTE_PGM_RSRC2:SCRATCH_EN: 0
; COMPUTE_PGM_RSRC2:USER_SGPR: 2
; COMPUTE_PGM_RSRC2:TRAP_HANDLER: 0
; COMPUTE_PGM_RSRC2:TGID_X_EN: 1
; COMPUTE_PGM_RSRC2:TGID_Y_EN: 0
; COMPUTE_PGM_RSRC2:TGID_Z_EN: 0
; COMPUTE_PGM_RSRC2:TIDIG_COMP_CNT: 0
	.text
	.p2alignl 7, 3214868480
	.fill 96, 4, 3214868480
	.type	__hip_cuid_493ccaf9b97f4645,@object ; @__hip_cuid_493ccaf9b97f4645
	.section	.bss,"aw",@nobits
	.globl	__hip_cuid_493ccaf9b97f4645
__hip_cuid_493ccaf9b97f4645:
	.byte	0                               ; 0x0
	.size	__hip_cuid_493ccaf9b97f4645, 1

	.ident	"AMD clang version 19.0.0git (https://github.com/RadeonOpenCompute/llvm-project roc-6.4.0 25133 c7fe45cf4b819c5991fe208aaa96edf142730f1d)"
	.section	".note.GNU-stack","",@progbits
	.addrsig
	.addrsig_sym __hip_cuid_493ccaf9b97f4645
	.amdgpu_metadata
---
amdhsa.kernels:
  - .args:
      - .actual_access:  read_only
        .address_space:  global
        .offset:         0
        .size:           8
        .value_kind:     global_buffer
      - .actual_access:  read_only
        .address_space:  global
        .offset:         8
        .size:           8
        .value_kind:     global_buffer
      - .actual_access:  read_only
        .address_space:  global
        .offset:         16
        .size:           8
        .value_kind:     global_buffer
      - .actual_access:  read_only
        .address_space:  global
        .offset:         24
        .size:           8
        .value_kind:     global_buffer
      - .offset:         32
        .size:           8
        .value_kind:     by_value
      - .actual_access:  read_only
        .address_space:  global
        .offset:         40
        .size:           8
        .value_kind:     global_buffer
      - .actual_access:  read_only
        .address_space:  global
        .offset:         48
        .size:           8
        .value_kind:     global_buffer
      - .offset:         56
        .size:           4
        .value_kind:     by_value
      - .actual_access:  read_only
        .address_space:  global
        .offset:         64
        .size:           8
        .value_kind:     global_buffer
      - .actual_access:  read_only
        .address_space:  global
        .offset:         72
        .size:           8
        .value_kind:     global_buffer
      - .actual_access:  read_only
        .address_space:  global
        .offset:         80
        .size:           8
        .value_kind:     global_buffer
      - .actual_access:  write_only
        .address_space:  global
        .offset:         88
        .size:           8
        .value_kind:     global_buffer
    .group_segment_fixed_size: 0
    .kernarg_segment_align: 8
    .kernarg_segment_size: 96
    .language:       OpenCL C
    .language_version:
      - 2
      - 0
    .max_flat_workgroup_size: 189
    .name:           fft_rtc_fwd_len81_factors_9_3_3_wgs_189_tpt_9_dim3_dp_op_CI_CI_sbrr_dirReg
    .private_segment_fixed_size: 0
    .sgpr_count:     20
    .sgpr_spill_count: 0
    .symbol:         fft_rtc_fwd_len81_factors_9_3_3_wgs_189_tpt_9_dim3_dp_op_CI_CI_sbrr_dirReg.kd
    .uniform_work_group_size: 1
    .uses_dynamic_stack: false
    .vgpr_count:     93
    .vgpr_spill_count: 0
    .wavefront_size: 32
    .workgroup_processor_mode: 1
amdhsa.target:   amdgcn-amd-amdhsa--gfx1201
amdhsa.version:
  - 1
  - 2
...

	.end_amdgpu_metadata
